;; amdgpu-corpus repo=ROCm/rocFFT kind=compiled arch=gfx906 opt=O3
	.text
	.amdgcn_target "amdgcn-amd-amdhsa--gfx906"
	.amdhsa_code_object_version 6
	.protected	fft_rtc_back_len1584_factors_4_2_2_11_3_3_wgs_176_tpt_176_halfLds_sp_op_CI_CI_unitstride_sbrr_C2R_dirReg ; -- Begin function fft_rtc_back_len1584_factors_4_2_2_11_3_3_wgs_176_tpt_176_halfLds_sp_op_CI_CI_unitstride_sbrr_C2R_dirReg
	.globl	fft_rtc_back_len1584_factors_4_2_2_11_3_3_wgs_176_tpt_176_halfLds_sp_op_CI_CI_unitstride_sbrr_C2R_dirReg
	.p2align	8
	.type	fft_rtc_back_len1584_factors_4_2_2_11_3_3_wgs_176_tpt_176_halfLds_sp_op_CI_CI_unitstride_sbrr_C2R_dirReg,@function
fft_rtc_back_len1584_factors_4_2_2_11_3_3_wgs_176_tpt_176_halfLds_sp_op_CI_CI_unitstride_sbrr_C2R_dirReg: ; @fft_rtc_back_len1584_factors_4_2_2_11_3_3_wgs_176_tpt_176_halfLds_sp_op_CI_CI_unitstride_sbrr_C2R_dirReg
; %bb.0:
	s_load_dwordx4 s[8:11], s[4:5], 0x58
	s_load_dwordx4 s[12:15], s[4:5], 0x0
	;; [unrolled: 1-line block ×3, first 2 shown]
	v_mul_u32_u24_e32 v1, 0x175, v0
	v_add_u32_sdwa v5, s6, v1 dst_sel:DWORD dst_unused:UNUSED_PAD src0_sel:DWORD src1_sel:WORD_1
	v_mov_b32_e32 v3, 0
	s_waitcnt lgkmcnt(0)
	v_cmp_lt_u64_e64 s[0:1], s[14:15], 2
	v_mov_b32_e32 v1, 0
	v_mov_b32_e32 v6, v3
	s_and_b64 vcc, exec, s[0:1]
	v_mov_b32_e32 v2, 0
	s_cbranch_vccnz .LBB0_8
; %bb.1:
	s_load_dwordx2 s[0:1], s[4:5], 0x10
	s_add_u32 s2, s18, 8
	s_addc_u32 s3, s19, 0
	s_add_u32 s6, s16, 8
	v_mov_b32_e32 v1, 0
	s_addc_u32 s7, s17, 0
	v_mov_b32_e32 v2, 0
	s_waitcnt lgkmcnt(0)
	s_add_u32 s20, s0, 8
	v_mov_b32_e32 v29, v2
	s_addc_u32 s21, s1, 0
	s_mov_b64 s[22:23], 1
	v_mov_b32_e32 v28, v1
.LBB0_2:                                ; =>This Inner Loop Header: Depth=1
	s_load_dwordx2 s[24:25], s[20:21], 0x0
                                        ; implicit-def: $vgpr30_vgpr31
	s_waitcnt lgkmcnt(0)
	v_or_b32_e32 v4, s25, v6
	v_cmp_ne_u64_e32 vcc, 0, v[3:4]
	s_and_saveexec_b64 s[0:1], vcc
	s_xor_b64 s[26:27], exec, s[0:1]
	s_cbranch_execz .LBB0_4
; %bb.3:                                ;   in Loop: Header=BB0_2 Depth=1
	v_cvt_f32_u32_e32 v4, s24
	v_cvt_f32_u32_e32 v7, s25
	s_sub_u32 s0, 0, s24
	s_subb_u32 s1, 0, s25
	v_mac_f32_e32 v4, 0x4f800000, v7
	v_rcp_f32_e32 v4, v4
	v_mul_f32_e32 v4, 0x5f7ffffc, v4
	v_mul_f32_e32 v7, 0x2f800000, v4
	v_trunc_f32_e32 v7, v7
	v_mac_f32_e32 v4, 0xcf800000, v7
	v_cvt_u32_f32_e32 v7, v7
	v_cvt_u32_f32_e32 v4, v4
	v_mul_lo_u32 v8, s0, v7
	v_mul_hi_u32 v9, s0, v4
	v_mul_lo_u32 v11, s1, v4
	v_mul_lo_u32 v10, s0, v4
	v_add_u32_e32 v8, v9, v8
	v_add_u32_e32 v8, v8, v11
	v_mul_hi_u32 v9, v4, v10
	v_mul_lo_u32 v11, v4, v8
	v_mul_hi_u32 v13, v4, v8
	v_mul_hi_u32 v12, v7, v10
	v_mul_lo_u32 v10, v7, v10
	v_mul_hi_u32 v14, v7, v8
	v_add_co_u32_e32 v9, vcc, v9, v11
	v_addc_co_u32_e32 v11, vcc, 0, v13, vcc
	v_mul_lo_u32 v8, v7, v8
	v_add_co_u32_e32 v9, vcc, v9, v10
	v_addc_co_u32_e32 v9, vcc, v11, v12, vcc
	v_addc_co_u32_e32 v10, vcc, 0, v14, vcc
	v_add_co_u32_e32 v8, vcc, v9, v8
	v_addc_co_u32_e32 v9, vcc, 0, v10, vcc
	v_add_co_u32_e32 v4, vcc, v4, v8
	v_addc_co_u32_e32 v7, vcc, v7, v9, vcc
	v_mul_lo_u32 v8, s0, v7
	v_mul_hi_u32 v9, s0, v4
	v_mul_lo_u32 v10, s1, v4
	v_mul_lo_u32 v11, s0, v4
	v_add_u32_e32 v8, v9, v8
	v_add_u32_e32 v8, v8, v10
	v_mul_lo_u32 v12, v4, v8
	v_mul_hi_u32 v13, v4, v11
	v_mul_hi_u32 v14, v4, v8
	v_mul_hi_u32 v10, v7, v11
	v_mul_lo_u32 v11, v7, v11
	v_mul_hi_u32 v9, v7, v8
	v_add_co_u32_e32 v12, vcc, v13, v12
	v_addc_co_u32_e32 v13, vcc, 0, v14, vcc
	v_mul_lo_u32 v8, v7, v8
	v_add_co_u32_e32 v11, vcc, v12, v11
	v_addc_co_u32_e32 v10, vcc, v13, v10, vcc
	v_addc_co_u32_e32 v9, vcc, 0, v9, vcc
	v_add_co_u32_e32 v8, vcc, v10, v8
	v_addc_co_u32_e32 v9, vcc, 0, v9, vcc
	v_add_co_u32_e32 v4, vcc, v4, v8
	v_addc_co_u32_e32 v9, vcc, v7, v9, vcc
	v_mad_u64_u32 v[7:8], s[0:1], v5, v9, 0
	v_mul_hi_u32 v10, v5, v4
	v_add_co_u32_e32 v11, vcc, v10, v7
	v_addc_co_u32_e32 v12, vcc, 0, v8, vcc
	v_mad_u64_u32 v[7:8], s[0:1], v6, v4, 0
	v_mad_u64_u32 v[9:10], s[0:1], v6, v9, 0
	v_add_co_u32_e32 v4, vcc, v11, v7
	v_addc_co_u32_e32 v4, vcc, v12, v8, vcc
	v_addc_co_u32_e32 v7, vcc, 0, v10, vcc
	v_add_co_u32_e32 v4, vcc, v4, v9
	v_addc_co_u32_e32 v9, vcc, 0, v7, vcc
	v_mul_lo_u32 v10, s25, v4
	v_mul_lo_u32 v11, s24, v9
	v_mad_u64_u32 v[7:8], s[0:1], s24, v4, 0
	v_add3_u32 v8, v8, v11, v10
	v_sub_u32_e32 v10, v6, v8
	v_mov_b32_e32 v11, s25
	v_sub_co_u32_e32 v7, vcc, v5, v7
	v_subb_co_u32_e64 v10, s[0:1], v10, v11, vcc
	v_subrev_co_u32_e64 v11, s[0:1], s24, v7
	v_subbrev_co_u32_e64 v10, s[0:1], 0, v10, s[0:1]
	v_cmp_le_u32_e64 s[0:1], s25, v10
	v_cndmask_b32_e64 v12, 0, -1, s[0:1]
	v_cmp_le_u32_e64 s[0:1], s24, v11
	v_cndmask_b32_e64 v11, 0, -1, s[0:1]
	v_cmp_eq_u32_e64 s[0:1], s25, v10
	v_cndmask_b32_e64 v10, v12, v11, s[0:1]
	v_add_co_u32_e64 v11, s[0:1], 2, v4
	v_addc_co_u32_e64 v12, s[0:1], 0, v9, s[0:1]
	v_add_co_u32_e64 v13, s[0:1], 1, v4
	v_addc_co_u32_e64 v14, s[0:1], 0, v9, s[0:1]
	v_subb_co_u32_e32 v8, vcc, v6, v8, vcc
	v_cmp_ne_u32_e64 s[0:1], 0, v10
	v_cmp_le_u32_e32 vcc, s25, v8
	v_cndmask_b32_e64 v10, v14, v12, s[0:1]
	v_cndmask_b32_e64 v12, 0, -1, vcc
	v_cmp_le_u32_e32 vcc, s24, v7
	v_cndmask_b32_e64 v7, 0, -1, vcc
	v_cmp_eq_u32_e32 vcc, s25, v8
	v_cndmask_b32_e32 v7, v12, v7, vcc
	v_cmp_ne_u32_e32 vcc, 0, v7
	v_cndmask_b32_e64 v7, v13, v11, s[0:1]
	v_cndmask_b32_e32 v31, v9, v10, vcc
	v_cndmask_b32_e32 v30, v4, v7, vcc
.LBB0_4:                                ;   in Loop: Header=BB0_2 Depth=1
	s_andn2_saveexec_b64 s[0:1], s[26:27]
	s_cbranch_execz .LBB0_6
; %bb.5:                                ;   in Loop: Header=BB0_2 Depth=1
	v_cvt_f32_u32_e32 v4, s24
	s_sub_i32 s26, 0, s24
	v_mov_b32_e32 v31, v3
	v_rcp_iflag_f32_e32 v4, v4
	v_mul_f32_e32 v4, 0x4f7ffffe, v4
	v_cvt_u32_f32_e32 v4, v4
	v_mul_lo_u32 v7, s26, v4
	v_mul_hi_u32 v7, v4, v7
	v_add_u32_e32 v4, v4, v7
	v_mul_hi_u32 v4, v5, v4
	v_mul_lo_u32 v7, v4, s24
	v_add_u32_e32 v8, 1, v4
	v_sub_u32_e32 v7, v5, v7
	v_subrev_u32_e32 v9, s24, v7
	v_cmp_le_u32_e32 vcc, s24, v7
	v_cndmask_b32_e32 v7, v7, v9, vcc
	v_cndmask_b32_e32 v4, v4, v8, vcc
	v_add_u32_e32 v8, 1, v4
	v_cmp_le_u32_e32 vcc, s24, v7
	v_cndmask_b32_e32 v30, v4, v8, vcc
.LBB0_6:                                ;   in Loop: Header=BB0_2 Depth=1
	s_or_b64 exec, exec, s[0:1]
	v_mul_lo_u32 v4, v31, s24
	v_mul_lo_u32 v9, v30, s25
	v_mad_u64_u32 v[7:8], s[0:1], v30, s24, 0
	s_load_dwordx2 s[0:1], s[6:7], 0x0
	s_load_dwordx2 s[24:25], s[2:3], 0x0
	v_add3_u32 v4, v8, v9, v4
	v_sub_co_u32_e32 v5, vcc, v5, v7
	v_subb_co_u32_e32 v4, vcc, v6, v4, vcc
	s_waitcnt lgkmcnt(0)
	v_mul_lo_u32 v6, s0, v4
	v_mul_lo_u32 v7, s1, v5
	v_mad_u64_u32 v[1:2], s[0:1], s0, v5, v[1:2]
	v_mul_lo_u32 v4, s24, v4
	v_mul_lo_u32 v8, s25, v5
	v_mad_u64_u32 v[28:29], s[0:1], s24, v5, v[28:29]
	s_add_u32 s22, s22, 1
	s_addc_u32 s23, s23, 0
	s_add_u32 s2, s2, 8
	v_add3_u32 v29, v8, v29, v4
	s_addc_u32 s3, s3, 0
	v_mov_b32_e32 v4, s14
	s_add_u32 s6, s6, 8
	v_mov_b32_e32 v5, s15
	s_addc_u32 s7, s7, 0
	v_cmp_ge_u64_e32 vcc, s[22:23], v[4:5]
	s_add_u32 s20, s20, 8
	v_add3_u32 v2, v7, v2, v6
	s_addc_u32 s21, s21, 0
	s_cbranch_vccnz .LBB0_9
; %bb.7:                                ;   in Loop: Header=BB0_2 Depth=1
	v_mov_b32_e32 v5, v30
	v_mov_b32_e32 v6, v31
	s_branch .LBB0_2
.LBB0_8:
	v_mov_b32_e32 v29, v2
	v_mov_b32_e32 v31, v6
	;; [unrolled: 1-line block ×4, first 2 shown]
.LBB0_9:
	s_load_dwordx2 s[2:3], s[4:5], 0x28
	s_lshl_b64 s[6:7], s[14:15], 3
	s_add_u32 s4, s18, s6
	s_addc_u32 s5, s19, s7
                                        ; implicit-def: $vgpr32
	s_waitcnt lgkmcnt(0)
	v_cmp_gt_u64_e64 s[0:1], s[2:3], v[30:31]
	v_cmp_le_u64_e32 vcc, s[2:3], v[30:31]
	s_and_saveexec_b64 s[2:3], vcc
	s_xor_b64 s[2:3], exec, s[2:3]
; %bb.10:
	s_mov_b32 s14, 0x1745d18
	v_mul_hi_u32 v1, v0, s14
	v_mul_u32_u24_e32 v1, 0xb0, v1
	v_sub_u32_e32 v32, v0, v1
                                        ; implicit-def: $vgpr0
                                        ; implicit-def: $vgpr1_vgpr2
; %bb.11:
	s_or_saveexec_b64 s[2:3], s[2:3]
	s_load_dwordx2 s[4:5], s[4:5], 0x0
	s_xor_b64 exec, exec, s[2:3]
	s_cbranch_execz .LBB0_15
; %bb.12:
	s_add_u32 s6, s16, s6
	s_addc_u32 s7, s17, s7
	s_load_dwordx2 s[6:7], s[6:7], 0x0
	s_mov_b32 s14, 0x1745d18
	v_mul_hi_u32 v5, v0, s14
	v_lshlrev_b64 v[1:2], 3, v[1:2]
	s_waitcnt lgkmcnt(0)
	v_mul_lo_u32 v6, s7, v30
	v_mul_lo_u32 v7, s6, v31
	v_mad_u64_u32 v[3:4], s[6:7], s6, v30, 0
	v_mul_u32_u24_e32 v5, 0xb0, v5
	v_sub_u32_e32 v32, v0, v5
	v_add3_u32 v4, v4, v7, v6
	v_lshlrev_b64 v[3:4], 3, v[3:4]
	v_mov_b32_e32 v0, s9
	v_add_co_u32_e32 v3, vcc, s8, v3
	v_addc_co_u32_e32 v0, vcc, v0, v4, vcc
	v_add_co_u32_e32 v1, vcc, v3, v1
	v_addc_co_u32_e32 v0, vcc, v0, v2, vcc
	v_lshlrev_b32_e32 v26, 3, v32
	v_add_co_u32_e32 v2, vcc, v1, v26
	v_addc_co_u32_e32 v3, vcc, 0, v0, vcc
	s_movk_i32 s6, 0x1000
	v_add_co_u32_e32 v4, vcc, s6, v2
	v_addc_co_u32_e32 v5, vcc, 0, v3, vcc
	v_add_co_u32_e32 v6, vcc, 0x2000, v2
	v_addc_co_u32_e32 v7, vcc, 0, v3, vcc
	global_load_dwordx2 v[8:9], v[2:3], off
	global_load_dwordx2 v[10:11], v[2:3], off offset:1408
	global_load_dwordx2 v[12:13], v[2:3], off offset:2816
	;; [unrolled: 1-line block ×8, first 2 shown]
	s_movk_i32 s6, 0xaf
	v_add_u32_e32 v2, 0, v26
	v_cmp_eq_u32_e32 vcc, s6, v32
	v_add_u32_e32 v3, 0xa00, v2
	v_add_u32_e32 v4, 0x1400, v2
	;; [unrolled: 1-line block ×3, first 2 shown]
	s_waitcnt vmcnt(7)
	ds_write2_b64 v2, v[8:9], v[10:11] offset1:176
	s_waitcnt vmcnt(5)
	ds_write2_b64 v3, v[12:13], v[14:15] offset0:32 offset1:208
	s_waitcnt vmcnt(3)
	ds_write2_b64 v4, v[16:17], v[18:19] offset0:64 offset1:240
	;; [unrolled: 2-line block ×3, first 2 shown]
	s_waitcnt vmcnt(0)
	ds_write_b64 v2, v[24:25] offset:11264
	s_and_saveexec_b64 s[6:7], vcc
	s_cbranch_execz .LBB0_14
; %bb.13:
	v_add_co_u32_e32 v1, vcc, 0x3000, v1
	v_addc_co_u32_e32 v2, vcc, 0, v0, vcc
	global_load_dwordx2 v[0:1], v[1:2], off offset:384
	v_mov_b32_e32 v2, 0
	v_mov_b32_e32 v32, 0xaf
	s_waitcnt vmcnt(0)
	ds_write_b64 v2, v[0:1] offset:12672
.LBB0_14:
	s_or_b64 exec, exec, s[6:7]
.LBB0_15:
	s_or_b64 exec, exec, s[2:3]
	v_lshlrev_b32_e32 v0, 3, v32
	v_add_u32_e32 v39, 0, v0
	s_waitcnt lgkmcnt(0)
	s_barrier
	v_sub_u32_e32 v4, 0, v0
	ds_read_b32 v5, v39
	ds_read_b32 v6, v4 offset:12672
	s_add_u32 s6, s12, 0x3160
	s_addc_u32 s7, s13, 0
	v_cmp_ne_u32_e32 vcc, 0, v32
                                        ; implicit-def: $vgpr0_vgpr1
	s_waitcnt lgkmcnt(0)
	v_add_f32_e32 v2, v6, v5
	v_sub_f32_e32 v3, v5, v6
	s_and_saveexec_b64 s[2:3], vcc
	s_xor_b64 s[2:3], exec, s[2:3]
	s_cbranch_execz .LBB0_17
; %bb.16:
	v_mov_b32_e32 v33, 0
	v_lshlrev_b64 v[0:1], 3, v[32:33]
	v_mov_b32_e32 v2, s7
	v_add_co_u32_e32 v0, vcc, s6, v0
	v_addc_co_u32_e32 v1, vcc, v2, v1, vcc
	global_load_dwordx2 v[0:1], v[0:1], off
	ds_read_b32 v2, v4 offset:12676
	ds_read_b32 v3, v39 offset:4
	v_add_f32_e32 v7, v6, v5
	v_sub_f32_e32 v8, v5, v6
	s_waitcnt lgkmcnt(0)
	v_add_f32_e32 v9, v2, v3
	v_sub_f32_e32 v2, v3, v2
	s_waitcnt vmcnt(0)
	v_fma_f32 v10, v8, v1, v7
	v_fma_f32 v3, v9, v1, v2
	v_fma_f32 v5, -v8, v1, v7
	v_fma_f32 v6, v9, v1, -v2
	v_fma_f32 v2, -v0, v9, v10
	v_fmac_f32_e32 v3, v8, v0
	v_fmac_f32_e32 v5, v0, v9
	;; [unrolled: 1-line block ×3, first 2 shown]
	v_mov_b32_e32 v0, v32
	ds_write_b64 v4, v[5:6] offset:12672
	v_mov_b32_e32 v1, v33
.LBB0_17:
	s_andn2_saveexec_b64 s[2:3], s[2:3]
	s_cbranch_execz .LBB0_19
; %bb.18:
	v_mov_b32_e32 v7, 0
	ds_read_b64 v[0:1], v7 offset:6336
	s_waitcnt lgkmcnt(0)
	v_add_f32_e32 v5, v0, v0
	v_mul_f32_e32 v6, -2.0, v1
	v_mov_b32_e32 v0, 0
	v_mov_b32_e32 v1, 0
	ds_write_b64 v7, v[5:6] offset:6336
.LBB0_19:
	s_or_b64 exec, exec, s[2:3]
	v_lshlrev_b64 v[0:1], 3, v[0:1]
	v_mov_b32_e32 v5, s7
	v_add_co_u32_e32 v0, vcc, s6, v0
	v_addc_co_u32_e32 v1, vcc, v5, v1, vcc
	global_load_dwordx2 v[5:6], v[0:1], off offset:1408
	global_load_dwordx2 v[7:8], v[0:1], off offset:2816
	s_movk_i32 s2, 0x1000
	v_add_co_u32_e32 v9, vcc, s2, v0
	v_addc_co_u32_e32 v10, vcc, 0, v1, vcc
	global_load_dwordx2 v[9:10], v[9:10], off offset:128
	ds_write_b64 v39, v[2:3]
	ds_read_b64 v[2:3], v39 offset:1408
	ds_read_b64 v[11:12], v4 offset:11264
	s_movk_i32 s2, 0x58
	v_cmp_gt_u32_e64 s[2:3], s2, v32
	s_waitcnt lgkmcnt(0)
	v_add_f32_e32 v13, v2, v11
	v_add_f32_e32 v14, v12, v3
	v_sub_f32_e32 v15, v2, v11
	v_sub_f32_e32 v2, v3, v12
	s_waitcnt vmcnt(2)
	v_fma_f32 v16, v15, v6, v13
	v_fma_f32 v3, v14, v6, v2
	v_fma_f32 v11, -v15, v6, v13
	v_fma_f32 v12, v14, v6, -v2
	v_fma_f32 v2, -v5, v14, v16
	v_fmac_f32_e32 v3, v15, v5
	v_fmac_f32_e32 v11, v5, v14
	;; [unrolled: 1-line block ×3, first 2 shown]
	ds_write_b64 v39, v[2:3] offset:1408
	ds_write_b64 v4, v[11:12] offset:11264
	ds_read_b64 v[2:3], v39 offset:2816
	ds_read_b64 v[5:6], v4 offset:9856
	s_waitcnt lgkmcnt(0)
	v_add_f32_e32 v11, v2, v5
	v_add_f32_e32 v12, v6, v3
	v_sub_f32_e32 v13, v2, v5
	v_sub_f32_e32 v2, v3, v6
	s_waitcnt vmcnt(1)
	v_fma_f32 v14, v13, v8, v11
	v_fma_f32 v3, v12, v8, v2
	v_fma_f32 v5, -v13, v8, v11
	v_fma_f32 v6, v12, v8, -v2
	v_fma_f32 v2, -v7, v12, v14
	v_fmac_f32_e32 v3, v13, v7
	v_fmac_f32_e32 v5, v7, v12
	;; [unrolled: 1-line block ×3, first 2 shown]
	ds_write_b64 v39, v[2:3] offset:2816
	ds_write_b64 v4, v[5:6] offset:9856
	ds_read_b64 v[2:3], v39 offset:4224
	ds_read_b64 v[5:6], v4 offset:8448
	s_waitcnt lgkmcnt(0)
	v_add_f32_e32 v7, v2, v5
	v_add_f32_e32 v8, v6, v3
	v_sub_f32_e32 v11, v2, v5
	v_sub_f32_e32 v2, v3, v6
	s_waitcnt vmcnt(0)
	v_fma_f32 v12, v11, v10, v7
	v_fma_f32 v3, v8, v10, v2
	v_fma_f32 v5, -v11, v10, v7
	v_fma_f32 v6, v8, v10, -v2
	v_fma_f32 v2, -v9, v8, v12
	v_fmac_f32_e32 v3, v11, v9
	v_fmac_f32_e32 v5, v9, v8
	;; [unrolled: 1-line block ×3, first 2 shown]
	ds_write_b64 v39, v[2:3] offset:4224
	ds_write_b64 v4, v[5:6] offset:8448
	s_and_saveexec_b64 s[6:7], s[2:3]
	s_cbranch_execz .LBB0_21
; %bb.20:
	v_add_co_u32_e32 v0, vcc, 0x1000, v0
	v_addc_co_u32_e32 v1, vcc, 0, v1, vcc
	global_load_dwordx2 v[0:1], v[0:1], off offset:1536
	ds_read_b64 v[2:3], v39 offset:5632
	ds_read_b64 v[5:6], v4 offset:7040
	s_waitcnt lgkmcnt(0)
	v_add_f32_e32 v7, v2, v5
	v_add_f32_e32 v8, v6, v3
	v_sub_f32_e32 v9, v2, v5
	v_sub_f32_e32 v3, v3, v6
	s_waitcnt vmcnt(0)
	v_fma_f32 v10, v9, v1, v7
	v_fma_f32 v2, v8, v1, v3
	v_fma_f32 v5, -v9, v1, v7
	v_fma_f32 v6, v8, v1, -v3
	v_fma_f32 v1, -v0, v8, v10
	v_fmac_f32_e32 v2, v9, v0
	v_fmac_f32_e32 v5, v0, v8
	v_fmac_f32_e32 v6, v9, v0
	ds_write_b64 v39, v[1:2] offset:5632
	ds_write_b64 v4, v[5:6] offset:7040
.LBB0_21:
	s_or_b64 exec, exec, s[6:7]
	v_add_u32_e32 v4, 0x1800, v39
	v_add_u32_e32 v9, 0x800, v39
	v_add_u32_e32 v13, 0x2000, v39
	s_waitcnt lgkmcnt(0)
	s_barrier
	s_barrier
	ds_read2_b64 v[0:3], v39 offset1:176
	ds_read2_b64 v[5:8], v4 offset0:24 offset1:200
	ds_read2_b64 v[9:12], v9 offset0:96 offset1:140
	;; [unrolled: 1-line block ×3, first 2 shown]
	v_add_u32_e32 v19, 0x2a00, v39
	v_mad_u32_u24 v20, v32, 24, v39
	s_waitcnt lgkmcnt(2)
	v_sub_f32_e32 v17, v0, v5
	v_sub_f32_e32 v18, v1, v6
	s_waitcnt lgkmcnt(0)
	v_sub_f32_e32 v15, v11, v15
	v_sub_f32_e32 v16, v12, v16
	v_fma_f32 v5, v0, 2.0, -v17
	v_fma_f32 v6, v1, 2.0, -v18
	;; [unrolled: 1-line block ×4, first 2 shown]
	v_add_f32_e32 v11, v17, v16
	v_sub_f32_e32 v12, v18, v15
	v_add_u32_e32 v15, 0x1000, v39
	v_fma_f32 v25, v17, 2.0, -v11
	v_fma_f32 v26, v18, 2.0, -v12
	ds_read2_b64 v[15:18], v15 offset0:60 offset1:236
	ds_read2_b64 v[21:24], v19 offset0:20 offset1:196
	v_sub_f32_e32 v0, v5, v0
	v_sub_f32_e32 v1, v6, v1
	v_fma_f32 v5, v5, 2.0, -v0
	v_fma_f32 v6, v6, 2.0, -v1
	s_waitcnt lgkmcnt(0)
	s_barrier
	ds_write2_b64 v20, v[5:6], v[25:26] offset1:1
	ds_write2_b64 v20, v[0:1], v[11:12] offset0:2 offset1:3
	v_sub_f32_e32 v7, v2, v7
	v_sub_f32_e32 v8, v3, v8
	;; [unrolled: 1-line block ×4, first 2 shown]
	v_fma_f32 v0, v2, 2.0, -v7
	v_fma_f32 v1, v3, 2.0, -v8
	v_fma_f32 v2, v15, 2.0, -v6
	v_fma_f32 v3, v16, 2.0, -v5
	v_sub_f32_e32 v2, v0, v2
	v_sub_f32_e32 v3, v1, v3
	v_add_f32_e32 v5, v7, v5
	v_sub_f32_e32 v6, v8, v6
	v_add_u32_e32 v21, 0xb0, v32
	v_fma_f32 v0, v0, 2.0, -v2
	v_fma_f32 v1, v1, 2.0, -v3
	;; [unrolled: 1-line block ×4, first 2 shown]
	v_lshl_add_u32 v11, v21, 5, 0
	ds_write2_b64 v11, v[0:1], v[7:8] offset1:1
	v_sub_f32_e32 v7, v9, v13
	v_sub_f32_e32 v8, v10, v14
	v_fma_f32 v0, v9, 2.0, -v7
	v_fma_f32 v1, v10, 2.0, -v8
	v_sub_f32_e32 v9, v17, v23
	v_sub_f32_e32 v10, v18, v24
	v_fma_f32 v12, v17, 2.0, -v9
	v_fma_f32 v13, v18, 2.0, -v10
	v_sub_f32_e32 v37, v0, v12
	v_sub_f32_e32 v38, v1, v13
	v_fma_f32 v16, v0, 2.0, -v37
	v_fma_f32 v17, v1, 2.0, -v38
	v_add_f32_e32 v0, v7, v10
	v_sub_f32_e32 v1, v8, v9
	v_fma_f32 v18, v7, 2.0, -v0
	v_fma_f32 v19, v8, 2.0, -v1
	v_add_u32_e32 v40, 0x160, v32
	v_cmp_gt_u32_e32 vcc, 44, v32
	ds_write2_b64 v11, v[2:3], v[5:6] offset0:2 offset1:3
	s_and_saveexec_b64 s[6:7], vcc
	s_cbranch_execz .LBB0_23
; %bb.22:
	v_lshl_add_u32 v2, v40, 5, 0
	ds_write2_b64 v2, v[16:17], v[18:19] offset1:1
	ds_write2_b64 v2, v[37:38], v[0:1] offset0:2 offset1:3
.LBB0_23:
	s_or_b64 exec, exec, s[6:7]
	s_waitcnt lgkmcnt(0)
	s_barrier
	ds_read2_b64 v[0:3], v39 offset1:176
	ds_read2_b64 v[8:11], v4 offset0:24 offset1:200
	v_add_u32_e32 v4, 0xa00, v39
	v_add_u32_e32 v12, 0x2200, v39
	ds_read2_b64 v[4:7], v4 offset0:32 offset1:208
	ds_read2_b64 v[12:15], v12 offset0:56 offset1:232
	s_and_saveexec_b64 s[6:7], s[2:3]
	s_cbranch_execz .LBB0_25
; %bb.24:
	s_movk_i32 s8, 0xffe8
	v_mad_i32_i24 v16, v32, s8, v20
	ds_read_b64 v[16:17], v16 offset:5632
	ds_read_b64 v[18:19], v39 offset:11968
.LBB0_25:
	s_or_b64 exec, exec, s[6:7]
	v_and_b32_e32 v20, 3, v32
	v_lshlrev_b32_e32 v22, 3, v20
	global_load_dwordx2 v[22:23], v22, s[12:13]
	s_movk_i32 s6, 0x1f8
	v_lshlrev_b32_e32 v33, 1, v32
	v_add_u32_e32 v24, 0x2c0, v32
	v_lshlrev_b32_e32 v36, 1, v21
	s_movk_i32 s7, 0x3f8
	v_lshlrev_b32_e32 v35, 1, v40
	s_movk_i32 s8, 0x7f8
	v_and_or_b32 v21, v33, s6, v20
	v_add_u32_e32 v41, 0x420, v33
	v_and_or_b32 v25, v36, s7, v20
	v_and_or_b32 v26, v35, s8, v20
	v_lshl_add_u32 v21, v21, 3, 0
	v_and_or_b32 v27, v41, s8, v20
	s_waitcnt vmcnt(0) lgkmcnt(0)
	s_barrier
	v_lshl_add_u32 v25, v25, 3, 0
	v_lshl_add_u32 v26, v26, 3, 0
	;; [unrolled: 1-line block ×3, first 2 shown]
	v_mul_f32_e32 v34, v23, v9
	v_mul_f32_e32 v42, v23, v8
	;; [unrolled: 1-line block ×10, first 2 shown]
	v_fmac_f32_e32 v34, v22, v8
	v_fma_f32 v8, v22, v9, -v42
	v_fmac_f32_e32 v43, v22, v10
	v_fma_f32 v9, v22, v11, -v44
	;; [unrolled: 2-line block ×5, first 2 shown]
	v_sub_f32_e32 v10, v0, v34
	v_sub_f32_e32 v11, v1, v8
	;; [unrolled: 1-line block ×10, first 2 shown]
	v_fma_f32 v0, v0, 2.0, -v10
	v_fma_f32 v1, v1, 2.0, -v11
	;; [unrolled: 1-line block ×4, first 2 shown]
	v_lshlrev_b32_e32 v34, 1, v24
	v_fma_f32 v2, v2, 2.0, -v12
	v_fma_f32 v3, v3, 2.0, -v13
	;; [unrolled: 1-line block ×6, first 2 shown]
	ds_write2_b64 v21, v[0:1], v[10:11] offset1:4
	ds_write2_b64 v25, v[2:3], v[12:13] offset1:4
	;; [unrolled: 1-line block ×4, first 2 shown]
	s_and_saveexec_b64 s[6:7], s[2:3]
	s_cbranch_execz .LBB0_27
; %bb.26:
	v_and_or_b32 v0, v34, s8, v20
	v_lshl_add_u32 v0, v0, 3, 0
	ds_write2_b64 v0, v[16:17], v[8:9] offset1:4
.LBB0_27:
	s_or_b64 exec, exec, s[6:7]
	v_add_u32_e32 v4, 0xa00, v39
	s_waitcnt lgkmcnt(0)
	s_barrier
	v_add_u32_e32 v0, 0x1800, v39
	ds_read2_b64 v[24:27], v4 offset0:32 offset1:208
	v_add_u32_e32 v4, 0x2200, v39
	ds_read2_b64 v[20:23], v39 offset1:176
	ds_read2_b64 v[0:3], v0 offset0:24 offset1:200
	ds_read2_b64 v[4:7], v4 offset0:56 offset1:232
	s_and_saveexec_b64 s[6:7], s[2:3]
	s_cbranch_execz .LBB0_29
; %bb.28:
	ds_read_b64 v[16:17], v39 offset:5632
	ds_read_b64 v[8:9], v39 offset:11968
.LBB0_29:
	s_or_b64 exec, exec, s[6:7]
	v_and_b32_e32 v42, 7, v32
	v_lshlrev_b32_e32 v10, 3, v42
	global_load_dwordx2 v[10:11], v10, s[12:13] offset:32
	s_movk_i32 s6, 0x1f0
	s_movk_i32 s7, 0x3f0
	;; [unrolled: 1-line block ×3, first 2 shown]
	v_and_or_b32 v12, v33, s6, v42
	v_and_or_b32 v13, v36, s7, v42
	;; [unrolled: 1-line block ×4, first 2 shown]
	v_lshl_add_u32 v41, v12, 3, 0
	v_lshl_add_u32 v43, v13, 3, 0
	;; [unrolled: 1-line block ×4, first 2 shown]
	s_waitcnt vmcnt(0) lgkmcnt(0)
	s_barrier
	v_mul_f32_e32 v12, v11, v1
	v_mul_f32_e32 v13, v11, v0
	;; [unrolled: 1-line block ×10, first 2 shown]
	v_fmac_f32_e32 v12, v10, v0
	v_fma_f32 v0, v10, v1, -v13
	v_fmac_f32_e32 v14, v10, v2
	v_fma_f32 v1, v10, v3, -v15
	;; [unrolled: 2-line block ×5, first 2 shown]
	v_sub_f32_e32 v2, v20, v12
	v_sub_f32_e32 v3, v21, v0
	;; [unrolled: 1-line block ×10, first 2 shown]
	v_fma_f32 v0, v20, 2.0, -v2
	v_fma_f32 v1, v21, 2.0, -v3
	;; [unrolled: 1-line block ×10, first 2 shown]
	ds_write2_b64 v41, v[0:1], v[2:3] offset1:8
	ds_write2_b64 v43, v[4:5], v[6:7] offset1:8
	;; [unrolled: 1-line block ×4, first 2 shown]
	s_and_saveexec_b64 s[6:7], s[2:3]
	s_cbranch_execz .LBB0_31
; %bb.30:
	v_and_or_b32 v20, v34, s8, v42
	v_lshl_add_u32 v20, v20, 3, 0
	ds_write2_b64 v20, v[16:17], v[18:19] offset1:8
.LBB0_31:
	s_or_b64 exec, exec, s[6:7]
	s_movk_i32 s2, 0x90
	v_cmp_gt_u32_e32 vcc, s2, v32
	s_waitcnt lgkmcnt(0)
	s_barrier
	s_and_saveexec_b64 s[2:3], vcc
	s_cbranch_execz .LBB0_33
; %bb.32:
	v_add_u32_e32 v4, 0x800, v39
	v_add_u32_e32 v8, 0x1000, v39
	;; [unrolled: 1-line block ×4, first 2 shown]
	ds_read2_b64 v[0:3], v39 offset1:144
	ds_read2_b64 v[4:7], v4 offset0:32 offset1:176
	ds_read2_b64 v[8:11], v8 offset0:64 offset1:208
	;; [unrolled: 1-line block ×3, first 2 shown]
	ds_read2_b64 v[16:19], v16 offset1:144
	ds_read_b64 v[37:38], v39 offset:11520
.LBB0_33:
	s_or_b64 exec, exec, s[2:3]
	s_waitcnt lgkmcnt(0)
	s_barrier
	s_and_saveexec_b64 s[2:3], vcc
	s_cbranch_execz .LBB0_35
; %bb.34:
	v_and_b32_e32 v20, 15, v32
	v_mul_u32_u24_e32 v21, 10, v20
	v_lshlrev_b32_e32 v25, 3, v21
	global_load_dwordx4 v[21:24], v25, s[12:13] offset:160
	global_load_dwordx4 v[41:44], v25, s[12:13] offset:96
	;; [unrolled: 1-line block ×5, first 2 shown]
	s_mov_b32 s7, 0x3f575c64
	s_mov_b32 s6, 0x3ed4b147
	;; [unrolled: 1-line block ×5, first 2 shown]
	s_waitcnt vmcnt(4)
	v_mul_f32_e32 v25, v38, v24
	v_mul_f32_e32 v24, v37, v24
	s_waitcnt vmcnt(3)
	v_mul_f32_e32 v27, v3, v42
	v_mul_f32_e32 v34, v2, v42
	;; [unrolled: 1-line block ×6, first 2 shown]
	v_fmac_f32_e32 v25, v37, v23
	v_fma_f32 v23, v38, v23, -v24
	v_fmac_f32_e32 v27, v2, v41
	v_fma_f32 v2, v3, v41, -v34
	s_waitcnt vmcnt(1)
	v_mul_f32_e32 v58, v7, v50
	v_mul_f32_e32 v50, v6, v50
	;; [unrolled: 1-line block ×6, first 2 shown]
	s_waitcnt vmcnt(0)
	v_mul_f32_e32 v61, v13, v56
	v_mul_f32_e32 v56, v12, v56
	;; [unrolled: 1-line block ×4, first 2 shown]
	v_fmac_f32_e32 v26, v18, v21
	v_fma_f32 v18, v19, v21, -v22
	v_fmac_f32_e32 v42, v4, v43
	v_fma_f32 v19, v5, v43, -v44
	v_sub_f32_e32 v3, v27, v25
	v_add_f32_e32 v4, v2, v23
	v_sub_f32_e32 v5, v2, v23
	v_mul_f32_e32 v57, v17, v48
	v_mul_f32_e32 v48, v16, v48
	v_fma_f32 v22, v7, v49, -v50
	v_fmac_f32_e32 v59, v14, v45
	v_fma_f32 v24, v15, v45, -v46
	v_fmac_f32_e32 v60, v8, v51
	;; [unrolled: 2-line block ×4, first 2 shown]
	v_fma_f32 v38, v11, v53, -v54
	v_mul_f32_e32 v7, 0xbf0a6770, v3
	v_mul_f32_e32 v8, 0xbf68dda4, v3
	;; [unrolled: 1-line block ×10, first 2 shown]
	v_fmac_f32_e32 v57, v16, v47
	v_fma_f32 v21, v17, v47, -v48
	v_fmac_f32_e32 v58, v6, v49
	v_add_f32_e32 v6, v27, v25
	v_mov_b32_e32 v16, v8
	v_mov_b32_e32 v17, v9
	;; [unrolled: 1-line block ×6, first 2 shown]
	v_sub_f32_e32 v55, v42, v26
	v_fma_f32 v10, v4, s9, -v10
	v_fma_f32 v9, v4, s8, -v9
	;; [unrolled: 1-line block ×4, first 2 shown]
	v_fmac_f32_e32 v11, 0xbf4178ce, v3
	v_fma_f32 v45, v6, s9, -v15
	v_fmac_f32_e32 v15, 0xbf75a155, v6
	v_fma_f32 v46, v6, s8, -v14
	;; [unrolled: 2-line block ×3, first 2 shown]
	v_fmac_f32_e32 v43, 0x3f575c64, v4
	v_fmac_f32_e32 v16, 0x3ed4b147, v4
	;; [unrolled: 1-line block ×7, first 2 shown]
	v_fma_f32 v3, v6, s7, -v12
	v_fmac_f32_e32 v12, 0x3f575c64, v6
	v_fma_f32 v4, v6, s14, -v5
	v_mul_f32_e32 v56, 0xbf68dda4, v55
	v_sub_f32_e32 v64, v58, v57
	v_add_f32_e32 v5, v1, v43
	v_add_f32_e32 v3, v0, v3
	;; [unrolled: 1-line block ×14, first 2 shown]
	v_mov_b32_e32 v0, v56
	v_mul_f32_e32 v65, 0xbf7d64f0, v64
	v_add_f32_e32 v17, v1, v17
	v_add_f32_e32 v41, v1, v41
	;; [unrolled: 1-line block ×9, first 2 shown]
	v_fmac_f32_e32 v0, 0x3ed4b147, v63
	v_add_f32_e32 v66, v22, v21
	v_mov_b32_e32 v1, v65
	v_sub_f32_e32 v67, v60, v59
	v_add_f32_e32 v0, v0, v5
	v_fmac_f32_e32 v1, 0xbe11bafb, v66
	v_mul_f32_e32 v68, 0xbf4178ce, v67
	v_add_f32_e32 v0, v1, v0
	v_add_f32_e32 v69, v34, v24
	v_mov_b32_e32 v1, v68
	v_sub_f32_e32 v11, v19, v18
	v_fmac_f32_e32 v1, 0xbf27a4f4, v69
	v_add_f32_e32 v70, v42, v26
	v_mul_f32_e32 v71, 0xbf68dda4, v11
	v_sub_f32_e32 v12, v22, v21
	v_add_f32_e32 v0, v1, v0
	v_fma_f32 v1, v70, s6, -v71
	v_add_f32_e32 v72, v58, v57
	v_mul_f32_e32 v73, 0xbf7d64f0, v12
	v_sub_f32_e32 v13, v34, v24
	v_add_f32_e32 v1, v1, v3
	v_fma_f32 v2, v72, s8, -v73
	;; [unrolled: 5-line block ×3, first 2 shown]
	v_mul_f32_e32 v77, 0xbe903f40, v76
	v_add_f32_e32 v2, v2, v1
	v_add_f32_e32 v78, v38, v37
	v_mov_b32_e32 v1, v77
	v_sub_f32_e32 v80, v38, v37
	v_fmac_f32_e32 v1, 0xbf75a155, v78
	v_add_f32_e32 v79, v62, v61
	v_mul_f32_e32 v81, 0xbe903f40, v80
	v_add_f32_e32 v1, v1, v0
	v_fma_f32 v0, v79, s9, -v81
	v_mul_f32_e32 v82, 0xbf4178ce, v55
	v_add_f32_e32 v0, v0, v2
	v_mov_b32_e32 v2, v82
	v_mul_f32_e32 v83, 0x3e903f40, v64
	v_fmac_f32_e32 v2, 0xbf27a4f4, v63
	v_mov_b32_e32 v3, v83
	v_add_f32_e32 v2, v2, v6
	v_fmac_f32_e32 v3, 0xbf75a155, v66
	v_mul_f32_e32 v84, 0x3f7d64f0, v67
	v_add_f32_e32 v2, v3, v2
	v_mov_b32_e32 v3, v84
	v_fmac_f32_e32 v3, 0xbe11bafb, v69
	v_mul_f32_e32 v85, 0xbf4178ce, v11
	v_add_f32_e32 v2, v3, v2
	v_fma_f32 v3, v70, s14, -v85
	v_add_f32_e32 v3, v3, v16
	v_mul_f32_e32 v16, 0x3e903f40, v12
	v_fma_f32 v4, v72, s9, -v16
	v_mul_f32_e32 v86, 0x3f7d64f0, v13
	v_add_f32_e32 v3, v4, v3
	v_fma_f32 v4, v74, s8, -v86
	v_mul_f32_e32 v87, 0x3f0a6770, v76
	v_add_f32_e32 v4, v4, v3
	v_mov_b32_e32 v3, v87
	v_fmac_f32_e32 v3, 0x3f575c64, v78
	v_mul_f32_e32 v88, 0x3f0a6770, v80
	v_add_f32_e32 v3, v3, v2
	v_fma_f32 v2, v79, s7, -v88
	v_mul_f32_e32 v89, 0x3e903f40, v55
	v_add_f32_e32 v2, v2, v4
	v_mov_b32_e32 v4, v89
	v_fmac_f32_e32 v4, 0xbf75a155, v63
	v_add_f32_e32 v4, v4, v17
	v_mul_f32_e32 v17, 0x3f68dda4, v64
	v_mov_b32_e32 v5, v17
	v_fmac_f32_e32 v5, 0x3ed4b147, v66
	v_mul_f32_e32 v90, 0xbf0a6770, v67
	v_add_f32_e32 v4, v5, v4
	v_mov_b32_e32 v5, v90
	v_fmac_f32_e32 v5, 0x3f575c64, v69
	v_mul_f32_e32 v91, 0x3e903f40, v11
	v_add_f32_e32 v4, v5, v4
	v_fma_f32 v5, v70, s9, -v91
	v_add_f32_e32 v5, v5, v43
	v_mul_f32_e32 v43, 0x3f68dda4, v12
	v_fma_f32 v6, v72, s6, -v43
	v_mul_f32_e32 v92, 0xbf0a6770, v13
	v_add_f32_e32 v5, v6, v5
	v_fma_f32 v6, v74, s7, -v92
	v_mul_f32_e32 v93, 0xbf4178ce, v76
	v_add_f32_e32 v6, v6, v5
	v_mov_b32_e32 v5, v93
	v_fmac_f32_e32 v5, 0xbf27a4f4, v78
	v_mul_f32_e32 v94, 0xbf4178ce, v80
	v_add_f32_e32 v5, v5, v4
	v_fma_f32 v4, v79, s14, -v94
	v_mul_f32_e32 v8, 0x3f0a6770, v55
	v_add_f32_e32 v4, v4, v6
	v_mov_b32_e32 v6, v8
	v_mul_f32_e32 v9, 0xbf4178ce, v64
	v_fmac_f32_e32 v6, 0x3f575c64, v63
	v_mov_b32_e32 v7, v9
	v_add_f32_e32 v6, v6, v41
	v_fmac_f32_e32 v7, 0xbf27a4f4, v66
	v_mul_f32_e32 v41, 0x3f68dda4, v67
	v_add_f32_e32 v6, v7, v6
	v_mov_b32_e32 v7, v41
	v_fmac_f32_e32 v7, 0x3ed4b147, v69
	v_mul_f32_e32 v95, 0x3f0a6770, v11
	v_add_f32_e32 v6, v7, v6
	v_fma_f32 v7, v70, s7, -v95
	v_add_f32_e32 v7, v7, v45
	v_mul_f32_e32 v45, 0xbf4178ce, v12
	v_fma_f32 v96, v72, s14, -v45
	v_fma_f32 v8, v63, s7, -v8
	v_add_f32_e32 v7, v96, v7
	v_mul_f32_e32 v96, 0x3f68dda4, v13
	v_add_f32_e32 v8, v8, v10
	v_fma_f32 v9, v66, s14, -v9
	v_fma_f32 v97, v74, s6, -v96
	v_mul_f32_e32 v98, 0xbf7d64f0, v76
	v_add_f32_e32 v8, v9, v8
	v_fma_f32 v9, v69, s6, -v41
	v_fmac_f32_e32 v95, 0x3f575c64, v70
	v_add_f32_e32 v97, v97, v7
	v_mov_b32_e32 v7, v98
	v_add_f32_e32 v8, v9, v8
	v_add_f32_e32 v9, v95, v15
	v_fmac_f32_e32 v45, 0xbf27a4f4, v72
	v_fmac_f32_e32 v7, 0xbe11bafb, v78
	v_mul_f32_e32 v99, 0xbf7d64f0, v80
	v_add_f32_e32 v9, v45, v9
	v_fmac_f32_e32 v96, 0x3ed4b147, v74
	v_mul_f32_e32 v95, 0x3f7d64f0, v11
	v_add_f32_e32 v7, v7, v6
	v_fma_f32 v6, v79, s8, -v99
	v_add_f32_e32 v10, v96, v9
	v_fma_f32 v9, v78, s8, -v98
	v_fmac_f32_e32 v99, 0xbe11bafb, v79
	v_mul_f32_e32 v41, 0xbe11bafb, v63
	v_mov_b32_e32 v11, v95
	v_add_f32_e32 v9, v9, v8
	v_add_f32_e32 v8, v99, v10
	v_mov_b32_e32 v10, v41
	v_fmac_f32_e32 v11, 0xbe11bafb, v70
	v_fmac_f32_e32 v10, 0xbf7d64f0, v55
	v_add_f32_e32 v11, v11, v46
	v_mul_f32_e32 v46, 0xbf0a6770, v12
	v_add_f32_e32 v19, v52, v19
	v_add_f32_e32 v10, v10, v44
	v_mul_f32_e32 v44, 0x3f575c64, v66
	v_mov_b32_e32 v12, v46
	v_add_f32_e32 v19, v19, v22
	v_mov_b32_e32 v15, v44
	v_fmac_f32_e32 v12, 0x3f575c64, v72
	v_mul_f32_e32 v96, 0xbe903f40, v13
	v_add_f32_e32 v19, v19, v34
	v_fmac_f32_e32 v15, 0x3f0a6770, v64
	v_mul_f32_e32 v45, 0xbf75a155, v69
	v_add_f32_e32 v11, v12, v11
	v_mov_b32_e32 v12, v96
	v_add_f32_e32 v19, v19, v38
	v_add_f32_e32 v6, v6, v97
	;; [unrolled: 1-line block ×3, first 2 shown]
	v_mov_b32_e32 v15, v45
	v_fmac_f32_e32 v12, 0xbf75a155, v74
	v_mul_f32_e32 v97, 0x3ed4b147, v78
	v_add_f32_e32 v19, v19, v37
	v_fmac_f32_e32 v15, 0x3e903f40, v67
	v_add_f32_e32 v12, v12, v11
	v_mov_b32_e32 v11, v97
	v_add_f32_e32 v19, v19, v24
	v_add_f32_e32 v10, v15, v10
	v_fmac_f32_e32 v11, 0xbf68dda4, v76
	v_mul_f32_e32 v80, 0x3f68dda4, v80
	v_add_f32_e32 v19, v19, v21
	v_add_f32_e32 v11, v11, v10
	v_mov_b32_e32 v10, v80
	v_add_f32_e32 v18, v19, v18
	v_add_f32_e32 v19, v27, v42
	v_fmac_f32_e32 v10, 0x3ed4b147, v79
	v_add_f32_e32 v19, v19, v58
	v_add_f32_e32 v10, v10, v12
	v_fma_f32 v12, v63, s9, -v89
	v_add_f32_e32 v19, v19, v60
	v_add_f32_e32 v12, v12, v47
	v_fma_f32 v13, v66, s6, -v17
	;; [unrolled: 3-line block ×3, first 2 shown]
	v_fmac_f32_e32 v91, 0xbf75a155, v70
	v_add_f32_e32 v19, v19, v61
	v_add_f32_e32 v12, v13, v12
	;; [unrolled: 1-line block ×3, first 2 shown]
	v_fmac_f32_e32 v43, 0x3ed4b147, v72
	v_add_f32_e32 v19, v19, v59
	v_add_f32_e32 v13, v43, v13
	v_fmac_f32_e32 v92, 0x3f575c64, v74
	v_add_f32_e32 v19, v19, v57
	v_add_f32_e32 v14, v92, v13
	v_fma_f32 v13, v78, s14, -v93
	v_fmac_f32_e32 v94, 0xbf27a4f4, v79
	v_add_f32_e32 v21, v19, v26
	v_fmac_f32_e32 v41, 0x3f7d64f0, v55
	v_add_f32_e32 v13, v13, v12
	v_add_f32_e32 v12, v94, v14
	v_fma_f32 v14, v63, s14, -v82
	v_add_f32_e32 v19, v18, v23
	v_add_f32_e32 v18, v21, v25
	;; [unrolled: 1-line block ×3, first 2 shown]
	v_fmac_f32_e32 v44, 0xbf0a6770, v64
	v_add_f32_e32 v14, v14, v48
	v_fma_f32 v15, v66, s9, -v83
	v_add_f32_e32 v21, v44, v21
	v_fmac_f32_e32 v45, 0xbe903f40, v67
	v_add_f32_e32 v14, v15, v14
	v_fma_f32 v15, v69, s8, -v84
	v_fmac_f32_e32 v85, 0xbf27a4f4, v70
	v_add_f32_e32 v21, v45, v21
	v_fmac_f32_e32 v97, 0x3f68dda4, v76
	v_add_f32_e32 v14, v15, v14
	v_add_f32_e32 v15, v85, v49
	v_fmac_f32_e32 v16, 0xbf75a155, v72
	v_add_f32_e32 v22, v97, v21
	v_fma_f32 v21, v70, s8, -v95
	v_add_f32_e32 v15, v16, v15
	v_fmac_f32_e32 v86, 0xbe11bafb, v74
	v_add_f32_e32 v21, v21, v54
	v_fma_f32 v23, v72, s7, -v46
	v_add_f32_e32 v16, v86, v15
	v_fma_f32 v15, v78, s7, -v87
	v_fmac_f32_e32 v88, 0x3f575c64, v79
	v_add_f32_e32 v21, v23, v21
	v_fma_f32 v23, v74, s9, -v96
	v_add_f32_e32 v15, v15, v14
	v_add_f32_e32 v14, v88, v16
	v_fma_f32 v16, v63, s6, -v56
	v_fmac_f32_e32 v71, 0x3ed4b147, v70
	v_add_f32_e32 v21, v23, v21
	v_fma_f32 v23, v79, s6, -v80
	v_add_f32_e32 v16, v16, v50
	v_fma_f32 v17, v66, s8, -v65
	v_add_f32_e32 v43, v71, v51
	v_fmac_f32_e32 v73, 0xbe11bafb, v72
	v_add_f32_e32 v21, v23, v21
	v_lshrrev_b32_e32 v23, 4, v32
	v_add_f32_e32 v16, v17, v16
	v_fma_f32 v17, v69, s14, -v68
	v_add_f32_e32 v43, v73, v43
	v_fmac_f32_e32 v75, 0xbf27a4f4, v74
	v_mul_u32_u24_e32 v23, 0xb0, v23
	v_add_f32_e32 v16, v17, v16
	v_fma_f32 v17, v78, s9, -v77
	v_add_f32_e32 v43, v75, v43
	v_fmac_f32_e32 v81, 0xbf75a155, v79
	v_or_b32_e32 v20, v23, v20
	v_add_f32_e32 v17, v17, v16
	v_add_f32_e32 v16, v81, v43
	v_lshl_add_u32 v20, v20, 3, 0
	ds_write2_b64 v20, v[18:19], v[16:17] offset1:16
	ds_write2_b64 v20, v[14:15], v[12:13] offset0:32 offset1:48
	ds_write2_b64 v20, v[10:11], v[8:9] offset0:64 offset1:80
	;; [unrolled: 1-line block ×4, first 2 shown]
	ds_write_b64 v20, v[0:1] offset:1280
.LBB0_35:
	s_or_b64 exec, exec, s[2:3]
	v_mov_b32_e32 v34, 0
	v_lshlrev_b64 v[0:1], 3, v[33:34]
	s_mov_b32 s2, 0xba2f
	v_mul_u32_u24_sdwa v4, v40, s2 dst_sel:DWORD dst_unused:UNUSED_PAD src0_sel:WORD_0 src1_sel:DWORD
	v_mov_b32_e32 v33, s13
	v_add_co_u32_e32 v24, vcc, s12, v0
	v_lshrrev_b32_e32 v4, 23, v4
	v_addc_co_u32_e32 v25, vcc, v33, v1, vcc
	v_mul_lo_u16_e32 v4, 0xb0, v4
	s_waitcnt lgkmcnt(0)
	s_barrier
	global_load_dwordx4 v[0:3], v[24:25], off offset:1376
	v_sub_u16_e32 v37, v40, v4
	v_lshlrev_b32_e32 v4, 4, v37
	global_load_dwordx4 v[4:7], v4, s[12:13] offset:1376
	v_add_u32_e32 v38, 0xa00, v39
	v_add_u32_e32 v40, 0x2000, v39
	ds_read2_b64 v[12:15], v38 offset0:32 offset1:208
	ds_read2_b64 v[8:11], v39 offset1:176
	v_add_u32_e32 v41, 0x1400, v39
	ds_read2_b64 v[16:19], v40 offset0:32 offset1:208
	ds_read_b64 v[26:27], v39 offset:11264
	ds_read2_b64 v[20:23], v41 offset0:64 offset1:240
	s_waitcnt vmcnt(0) lgkmcnt(0)
	s_barrier
	s_movk_i32 s2, 0x1000
	v_mul_f32_e32 v42, v1, v15
	v_mul_f32_e32 v44, v3, v17
	;; [unrolled: 1-line block ×8, first 2 shown]
	v_fmac_f32_e32 v42, v0, v14
	v_fmac_f32_e32 v44, v2, v16
	v_fma_f32 v14, v0, v15, -v43
	v_fma_f32 v15, v2, v17, -v45
	v_fmac_f32_e32 v46, v0, v20
	v_fma_f32 v0, v0, v21, -v1
	v_fmac_f32_e32 v47, v2, v18
	v_fma_f32 v16, v2, v19, -v3
	v_mul_f32_e32 v17, v5, v23
	v_mul_f32_e32 v1, v5, v22
	;; [unrolled: 1-line block ×3, first 2 shown]
	v_add_f32_e32 v5, v42, v44
	v_mul_f32_e32 v18, v27, v7
	v_add_f32_e32 v3, v8, v42
	v_sub_f32_e32 v19, v14, v15
	v_add_f32_e32 v7, v9, v14
	v_add_f32_e32 v14, v14, v15
	v_fmac_f32_e32 v17, v4, v22
	v_fma_f32 v22, v4, v23, -v1
	v_fma_f32 v23, v27, v6, -v2
	v_fma_f32 v2, -0.5, v5, v8
	v_sub_f32_e32 v20, v42, v44
	v_add_f32_e32 v42, v46, v47
	v_sub_f32_e32 v43, v0, v16
	v_add_f32_e32 v45, v11, v0
	v_add_f32_e32 v48, v0, v16
	v_fmac_f32_e32 v18, v26, v6
	v_add_f32_e32 v0, v3, v44
	v_fma_f32 v3, -0.5, v14, v9
	v_mov_b32_e32 v6, v2
	v_add_f32_e32 v21, v10, v46
	v_add_f32_e32 v1, v7, v15
	v_fma_f32 v10, -0.5, v42, v10
	v_fmac_f32_e32 v11, -0.5, v48
	v_fmac_f32_e32 v2, 0x3f5db3d7, v19
	v_mov_b32_e32 v7, v3
	v_add_f32_e32 v15, v17, v18
	v_fmac_f32_e32 v6, 0xbf5db3d7, v19
	v_add_f32_e32 v19, v22, v23
	v_sub_f32_e32 v46, v46, v47
	v_add_f32_e32 v5, v45, v16
	v_mov_b32_e32 v8, v10
	v_mov_b32_e32 v9, v11
	v_add_f32_e32 v14, v12, v17
	v_add_f32_e32 v16, v13, v22
	v_fmac_f32_e32 v7, 0x3f5db3d7, v20
	v_fma_f32 v12, -0.5, v15, v12
	v_fmac_f32_e32 v13, -0.5, v19
	v_add_f32_e32 v4, v21, v47
	v_fmac_f32_e32 v3, 0xbf5db3d7, v20
	v_fmac_f32_e32 v10, 0x3f5db3d7, v43
	;; [unrolled: 1-line block ×3, first 2 shown]
	v_sub_f32_e32 v21, v22, v23
	v_fmac_f32_e32 v8, 0xbf5db3d7, v43
	v_fmac_f32_e32 v9, 0x3f5db3d7, v46
	v_add_f32_e32 v14, v14, v18
	v_add_f32_e32 v15, v16, v23
	v_mov_b32_e32 v16, v12
	v_sub_f32_e32 v18, v17, v18
	v_mov_b32_e32 v17, v13
	ds_write2_b64 v39, v[0:1], v[6:7] offset1:176
	ds_write2_b64 v38, v[2:3], v[4:5] offset0:32 offset1:208
	ds_write2_b64 v41, v[8:9], v[10:11] offset0:64 offset1:240
	v_lshl_add_u32 v0, v37, 3, 0
	v_fmac_f32_e32 v16, 0xbf5db3d7, v21
	v_fmac_f32_e32 v17, 0x3f5db3d7, v18
	v_add_u32_e32 v1, 0x2000, v0
	v_mov_b32_e32 v37, v34
	v_fmac_f32_e32 v12, 0x3f5db3d7, v21
	v_fmac_f32_e32 v13, 0xbf5db3d7, v18
	ds_write2_b64 v1, v[14:15], v[16:17] offset0:32 offset1:208
	ds_write_b64 v0, v[12:13] offset:11264
	v_add_co_u32_e32 v8, vcc, s2, v24
	v_lshlrev_b64 v[0:1], 3, v[36:37]
	v_addc_co_u32_e32 v9, vcc, 0, v25, vcc
	v_add_co_u32_e32 v0, vcc, s12, v0
	v_addc_co_u32_e32 v1, vcc, v33, v1, vcc
	v_add_co_u32_e32 v10, vcc, s2, v0
	v_mov_b32_e32 v36, v34
	s_waitcnt lgkmcnt(0)
	s_barrier
	v_addc_co_u32_e32 v11, vcc, 0, v1, vcc
	global_load_dwordx4 v[0:3], v[8:9], off offset:96
	global_load_dwordx4 v[4:7], v[10:11], off offset:96
	v_lshlrev_b64 v[8:9], 3, v[35:36]
	v_add_co_u32_e32 v8, vcc, s12, v8
	v_addc_co_u32_e32 v9, vcc, v33, v9, vcc
	v_add_co_u32_e32 v8, vcc, s2, v8
	v_addc_co_u32_e32 v9, vcc, 0, v9, vcc
	global_load_dwordx4 v[8:11], v[8:9], off offset:96
	ds_read2_b64 v[12:15], v38 offset0:32 offset1:208
	ds_read2_b64 v[16:19], v39 offset1:176
	ds_read2_b64 v[20:23], v40 offset0:32 offset1:208
	ds_read2_b64 v[24:27], v41 offset0:64 offset1:240
	ds_read_b64 v[35:36], v39 offset:11264
	s_waitcnt vmcnt(0) lgkmcnt(0)
	s_barrier
	v_mul_f32_e32 v33, v1, v15
	v_mul_f32_e32 v1, v1, v14
	;; [unrolled: 1-line block ×6, first 2 shown]
	v_fmac_f32_e32 v33, v0, v14
	v_fma_f32 v14, v0, v15, -v1
	v_fmac_f32_e32 v37, v2, v20
	v_fma_f32 v3, v2, v21, -v3
	;; [unrolled: 2-line block ×3, first 2 shown]
	v_add_f32_e32 v1, v33, v37
	v_add_f32_e32 v4, v17, v14
	v_mul_f32_e32 v43, v7, v23
	v_sub_f32_e32 v5, v14, v3
	v_fma_f32 v2, -0.5, v1, v16
	v_add_f32_e32 v1, v4, v3
	v_add_f32_e32 v3, v14, v3
	v_mul_f32_e32 v7, v7, v22
	v_fmac_f32_e32 v43, v6, v22
	v_mov_b32_e32 v4, v2
	v_fma_f32 v3, -0.5, v3, v17
	v_fma_f32 v20, v6, v23, -v7
	v_fmac_f32_e32 v2, 0x3f5db3d7, v5
	v_fmac_f32_e32 v4, 0xbf5db3d7, v5
	v_sub_f32_e32 v6, v33, v37
	v_mov_b32_e32 v5, v3
	v_add_f32_e32 v7, v42, v43
	v_mul_f32_e32 v44, v9, v27
	v_mul_f32_e32 v9, v9, v26
	v_fmac_f32_e32 v5, 0x3f5db3d7, v6
	v_fmac_f32_e32 v3, 0xbf5db3d7, v6
	v_add_f32_e32 v6, v18, v42
	v_fma_f32 v18, -0.5, v7, v18
	v_mul_f32_e32 v45, v36, v11
	v_fmac_f32_e32 v44, v8, v26
	v_fma_f32 v21, v8, v27, -v9
	v_sub_f32_e32 v7, v15, v20
	v_mov_b32_e32 v8, v18
	v_add_f32_e32 v9, v15, v20
	v_mul_f32_e32 v11, v35, v11
	v_fmac_f32_e32 v45, v35, v10
	v_fmac_f32_e32 v8, 0xbf5db3d7, v7
	;; [unrolled: 1-line block ×3, first 2 shown]
	v_add_f32_e32 v7, v19, v15
	v_fmac_f32_e32 v19, -0.5, v9
	v_fma_f32 v22, v36, v10, -v11
	v_sub_f32_e32 v10, v42, v43
	v_mov_b32_e32 v9, v19
	v_add_f32_e32 v11, v44, v45
	v_fmac_f32_e32 v9, 0x3f5db3d7, v10
	v_fmac_f32_e32 v19, 0xbf5db3d7, v10
	v_add_f32_e32 v10, v12, v44
	v_fma_f32 v12, -0.5, v11, v12
	v_sub_f32_e32 v11, v21, v22
	v_mov_b32_e32 v14, v12
	v_add_f32_e32 v15, v21, v22
	v_add_f32_e32 v0, v16, v33
	v_fmac_f32_e32 v14, 0xbf5db3d7, v11
	v_fmac_f32_e32 v12, 0x3f5db3d7, v11
	v_add_f32_e32 v11, v13, v21
	v_fmac_f32_e32 v13, -0.5, v15
	v_add_f32_e32 v0, v0, v37
	v_add_f32_e32 v6, v6, v43
	v_add_f32_e32 v7, v7, v20
	v_sub_f32_e32 v16, v44, v45
	v_mov_b32_e32 v15, v13
	v_add_f32_e32 v10, v10, v45
	v_add_f32_e32 v11, v11, v22
	v_fmac_f32_e32 v15, 0x3f5db3d7, v16
	v_fmac_f32_e32 v13, 0xbf5db3d7, v16
	ds_write2_b64 v39, v[0:1], v[6:7] offset1:176
	ds_write2_b64 v40, v[2:3], v[18:19] offset0:32 offset1:208
	ds_write2_b64 v38, v[10:11], v[4:5] offset0:32 offset1:208
	;; [unrolled: 1-line block ×3, first 2 shown]
	ds_write_b64 v39, v[12:13] offset:11264
	s_waitcnt lgkmcnt(0)
	s_barrier
	s_and_saveexec_b64 s[2:3], s[0:1]
	s_cbranch_execz .LBB0_37
; %bb.36:
	v_mul_lo_u32 v0, s5, v30
	v_mul_lo_u32 v1, s4, v31
	v_mad_u64_u32 v[4:5], s[0:1], s4, v30, 0
	v_mov_b32_e32 v7, s11
	v_lshl_add_u32 v6, v32, 3, 0
	v_add3_u32 v5, v5, v1, v0
	v_lshlrev_b64 v[4:5], 3, v[4:5]
	v_mov_b32_e32 v33, v34
	v_add_co_u32_e32 v8, vcc, s10, v4
	v_addc_co_u32_e32 v7, vcc, v7, v5, vcc
	v_lshlrev_b64 v[4:5], 3, v[28:29]
	ds_read2_b64 v[0:3], v6 offset1:176
	v_add_co_u32_e32 v8, vcc, v8, v4
	v_addc_co_u32_e32 v7, vcc, v7, v5, vcc
	v_lshlrev_b64 v[4:5], 3, v[32:33]
	v_add_u32_e32 v33, 0xb0, v32
	v_add_co_u32_e32 v4, vcc, v8, v4
	v_addc_co_u32_e32 v5, vcc, v7, v5, vcc
	s_waitcnt lgkmcnt(0)
	global_store_dwordx2 v[4:5], v[0:1], off
	v_lshlrev_b64 v[0:1], 3, v[33:34]
	v_add_u32_e32 v33, 0x160, v32
	v_add_co_u32_e32 v0, vcc, v8, v0
	v_addc_co_u32_e32 v1, vcc, v7, v1, vcc
	global_store_dwordx2 v[0:1], v[2:3], off
	v_add_u32_e32 v0, 0xa00, v6
	ds_read2_b64 v[0:3], v0 offset0:32 offset1:208
	v_lshlrev_b64 v[4:5], 3, v[33:34]
	v_add_u32_e32 v33, 0x210, v32
	v_add_co_u32_e32 v4, vcc, v8, v4
	v_addc_co_u32_e32 v5, vcc, v7, v5, vcc
	s_waitcnt lgkmcnt(0)
	global_store_dwordx2 v[4:5], v[0:1], off
	v_lshlrev_b64 v[0:1], 3, v[33:34]
	v_add_u32_e32 v33, 0x2c0, v32
	v_add_co_u32_e32 v0, vcc, v8, v0
	v_addc_co_u32_e32 v1, vcc, v7, v1, vcc
	global_store_dwordx2 v[0:1], v[2:3], off
	v_add_u32_e32 v0, 0x1400, v6
	ds_read2_b64 v[0:3], v0 offset0:64 offset1:240
	;; [unrolled: 13-line block ×3, first 2 shown]
	v_lshlrev_b64 v[4:5], 3, v[33:34]
	v_add_u32_e32 v33, 0x4d0, v32
	v_add_co_u32_e32 v4, vcc, v8, v4
	v_addc_co_u32_e32 v5, vcc, v7, v5, vcc
	s_waitcnt lgkmcnt(0)
	global_store_dwordx2 v[4:5], v[0:1], off
	v_lshlrev_b64 v[0:1], 3, v[33:34]
	v_add_u32_e32 v33, 0x580, v32
	v_add_co_u32_e32 v0, vcc, v8, v0
	v_addc_co_u32_e32 v1, vcc, v7, v1, vcc
	global_store_dwordx2 v[0:1], v[2:3], off
	ds_read_b64 v[0:1], v6 offset:11264
	v_lshlrev_b64 v[2:3], 3, v[33:34]
	v_add_co_u32_e32 v2, vcc, v8, v2
	v_addc_co_u32_e32 v3, vcc, v7, v3, vcc
	s_waitcnt lgkmcnt(0)
	global_store_dwordx2 v[2:3], v[0:1], off
.LBB0_37:
	s_endpgm
	.section	.rodata,"a",@progbits
	.p2align	6, 0x0
	.amdhsa_kernel fft_rtc_back_len1584_factors_4_2_2_11_3_3_wgs_176_tpt_176_halfLds_sp_op_CI_CI_unitstride_sbrr_C2R_dirReg
		.amdhsa_group_segment_fixed_size 0
		.amdhsa_private_segment_fixed_size 0
		.amdhsa_kernarg_size 104
		.amdhsa_user_sgpr_count 6
		.amdhsa_user_sgpr_private_segment_buffer 1
		.amdhsa_user_sgpr_dispatch_ptr 0
		.amdhsa_user_sgpr_queue_ptr 0
		.amdhsa_user_sgpr_kernarg_segment_ptr 1
		.amdhsa_user_sgpr_dispatch_id 0
		.amdhsa_user_sgpr_flat_scratch_init 0
		.amdhsa_user_sgpr_private_segment_size 0
		.amdhsa_uses_dynamic_stack 0
		.amdhsa_system_sgpr_private_segment_wavefront_offset 0
		.amdhsa_system_sgpr_workgroup_id_x 1
		.amdhsa_system_sgpr_workgroup_id_y 0
		.amdhsa_system_sgpr_workgroup_id_z 0
		.amdhsa_system_sgpr_workgroup_info 0
		.amdhsa_system_vgpr_workitem_id 0
		.amdhsa_next_free_vgpr 100
		.amdhsa_next_free_sgpr 28
		.amdhsa_reserve_vcc 1
		.amdhsa_reserve_flat_scratch 0
		.amdhsa_float_round_mode_32 0
		.amdhsa_float_round_mode_16_64 0
		.amdhsa_float_denorm_mode_32 3
		.amdhsa_float_denorm_mode_16_64 3
		.amdhsa_dx10_clamp 1
		.amdhsa_ieee_mode 1
		.amdhsa_fp16_overflow 0
		.amdhsa_exception_fp_ieee_invalid_op 0
		.amdhsa_exception_fp_denorm_src 0
		.amdhsa_exception_fp_ieee_div_zero 0
		.amdhsa_exception_fp_ieee_overflow 0
		.amdhsa_exception_fp_ieee_underflow 0
		.amdhsa_exception_fp_ieee_inexact 0
		.amdhsa_exception_int_div_zero 0
	.end_amdhsa_kernel
	.text
.Lfunc_end0:
	.size	fft_rtc_back_len1584_factors_4_2_2_11_3_3_wgs_176_tpt_176_halfLds_sp_op_CI_CI_unitstride_sbrr_C2R_dirReg, .Lfunc_end0-fft_rtc_back_len1584_factors_4_2_2_11_3_3_wgs_176_tpt_176_halfLds_sp_op_CI_CI_unitstride_sbrr_C2R_dirReg
                                        ; -- End function
	.section	.AMDGPU.csdata,"",@progbits
; Kernel info:
; codeLenInByte = 7872
; NumSgprs: 32
; NumVgprs: 100
; ScratchSize: 0
; MemoryBound: 0
; FloatMode: 240
; IeeeMode: 1
; LDSByteSize: 0 bytes/workgroup (compile time only)
; SGPRBlocks: 3
; VGPRBlocks: 24
; NumSGPRsForWavesPerEU: 32
; NumVGPRsForWavesPerEU: 100
; Occupancy: 2
; WaveLimiterHint : 1
; COMPUTE_PGM_RSRC2:SCRATCH_EN: 0
; COMPUTE_PGM_RSRC2:USER_SGPR: 6
; COMPUTE_PGM_RSRC2:TRAP_HANDLER: 0
; COMPUTE_PGM_RSRC2:TGID_X_EN: 1
; COMPUTE_PGM_RSRC2:TGID_Y_EN: 0
; COMPUTE_PGM_RSRC2:TGID_Z_EN: 0
; COMPUTE_PGM_RSRC2:TIDIG_COMP_CNT: 0
	.type	__hip_cuid_bb95a699f4e6dedb,@object ; @__hip_cuid_bb95a699f4e6dedb
	.section	.bss,"aw",@nobits
	.globl	__hip_cuid_bb95a699f4e6dedb
__hip_cuid_bb95a699f4e6dedb:
	.byte	0                               ; 0x0
	.size	__hip_cuid_bb95a699f4e6dedb, 1

	.ident	"AMD clang version 19.0.0git (https://github.com/RadeonOpenCompute/llvm-project roc-6.4.0 25133 c7fe45cf4b819c5991fe208aaa96edf142730f1d)"
	.section	".note.GNU-stack","",@progbits
	.addrsig
	.addrsig_sym __hip_cuid_bb95a699f4e6dedb
	.amdgpu_metadata
---
amdhsa.kernels:
  - .args:
      - .actual_access:  read_only
        .address_space:  global
        .offset:         0
        .size:           8
        .value_kind:     global_buffer
      - .offset:         8
        .size:           8
        .value_kind:     by_value
      - .actual_access:  read_only
        .address_space:  global
        .offset:         16
        .size:           8
        .value_kind:     global_buffer
      - .actual_access:  read_only
        .address_space:  global
        .offset:         24
        .size:           8
        .value_kind:     global_buffer
      - .actual_access:  read_only
        .address_space:  global
        .offset:         32
        .size:           8
        .value_kind:     global_buffer
      - .offset:         40
        .size:           8
        .value_kind:     by_value
      - .actual_access:  read_only
        .address_space:  global
        .offset:         48
        .size:           8
        .value_kind:     global_buffer
      - .actual_access:  read_only
        .address_space:  global
        .offset:         56
        .size:           8
        .value_kind:     global_buffer
      - .offset:         64
        .size:           4
        .value_kind:     by_value
      - .actual_access:  read_only
        .address_space:  global
        .offset:         72
        .size:           8
        .value_kind:     global_buffer
      - .actual_access:  read_only
        .address_space:  global
        .offset:         80
        .size:           8
        .value_kind:     global_buffer
      - .actual_access:  read_only
        .address_space:  global
        .offset:         88
        .size:           8
        .value_kind:     global_buffer
      - .actual_access:  write_only
        .address_space:  global
        .offset:         96
        .size:           8
        .value_kind:     global_buffer
    .group_segment_fixed_size: 0
    .kernarg_segment_align: 8
    .kernarg_segment_size: 104
    .language:       OpenCL C
    .language_version:
      - 2
      - 0
    .max_flat_workgroup_size: 176
    .name:           fft_rtc_back_len1584_factors_4_2_2_11_3_3_wgs_176_tpt_176_halfLds_sp_op_CI_CI_unitstride_sbrr_C2R_dirReg
    .private_segment_fixed_size: 0
    .sgpr_count:     32
    .sgpr_spill_count: 0
    .symbol:         fft_rtc_back_len1584_factors_4_2_2_11_3_3_wgs_176_tpt_176_halfLds_sp_op_CI_CI_unitstride_sbrr_C2R_dirReg.kd
    .uniform_work_group_size: 1
    .uses_dynamic_stack: false
    .vgpr_count:     100
    .vgpr_spill_count: 0
    .wavefront_size: 64
amdhsa.target:   amdgcn-amd-amdhsa--gfx906
amdhsa.version:
  - 1
  - 2
...

	.end_amdgpu_metadata
